;; amdgpu-corpus repo=ROCm/rocFFT kind=compiled arch=gfx1030 opt=O3
	.text
	.amdgcn_target "amdgcn-amd-amdhsa--gfx1030"
	.amdhsa_code_object_version 6
	.protected	fft_rtc_fwd_len405_factors_5_3_3_3_3_wgs_108_tpt_27_halfLds_dp_op_CI_CI_unitstride_sbrr_dirReg ; -- Begin function fft_rtc_fwd_len405_factors_5_3_3_3_3_wgs_108_tpt_27_halfLds_dp_op_CI_CI_unitstride_sbrr_dirReg
	.globl	fft_rtc_fwd_len405_factors_5_3_3_3_3_wgs_108_tpt_27_halfLds_dp_op_CI_CI_unitstride_sbrr_dirReg
	.p2align	8
	.type	fft_rtc_fwd_len405_factors_5_3_3_3_3_wgs_108_tpt_27_halfLds_dp_op_CI_CI_unitstride_sbrr_dirReg,@function
fft_rtc_fwd_len405_factors_5_3_3_3_3_wgs_108_tpt_27_halfLds_dp_op_CI_CI_unitstride_sbrr_dirReg: ; @fft_rtc_fwd_len405_factors_5_3_3_3_3_wgs_108_tpt_27_halfLds_dp_op_CI_CI_unitstride_sbrr_dirReg
; %bb.0:
	s_clause 0x2
	s_load_dwordx4 s[12:15], s[4:5], 0x0
	s_load_dwordx4 s[8:11], s[4:5], 0x58
	;; [unrolled: 1-line block ×3, first 2 shown]
	v_mul_u32_u24_e32 v1, 0x97c, v0
	v_mov_b32_e32 v4, 0
	v_mov_b32_e32 v5, 0
	v_lshrrev_b32_e32 v65, 16, v1
	v_mov_b32_e32 v1, 0
	v_lshl_add_u32 v6, s6, 2, v65
	v_mov_b32_e32 v7, v1
	s_waitcnt lgkmcnt(0)
	v_cmp_lt_u64_e64 s0, s[14:15], 2
	s_and_b32 vcc_lo, exec_lo, s0
	s_cbranch_vccnz .LBB0_8
; %bb.1:
	s_load_dwordx2 s[0:1], s[4:5], 0x10
	v_mov_b32_e32 v4, 0
	v_mov_b32_e32 v5, 0
	s_add_u32 s2, s18, 8
	s_addc_u32 s3, s19, 0
	s_add_u32 s6, s16, 8
	s_addc_u32 s7, s17, 0
	v_mov_b32_e32 v61, v5
	v_mov_b32_e32 v60, v4
	s_mov_b64 s[22:23], 1
	s_waitcnt lgkmcnt(0)
	s_add_u32 s20, s0, 8
	s_addc_u32 s21, s1, 0
.LBB0_2:                                ; =>This Inner Loop Header: Depth=1
	s_load_dwordx2 s[24:25], s[20:21], 0x0
                                        ; implicit-def: $vgpr62_vgpr63
	s_mov_b32 s0, exec_lo
	s_waitcnt lgkmcnt(0)
	v_or_b32_e32 v2, s25, v7
	v_cmpx_ne_u64_e32 0, v[1:2]
	s_xor_b32 s1, exec_lo, s0
	s_cbranch_execz .LBB0_4
; %bb.3:                                ;   in Loop: Header=BB0_2 Depth=1
	v_cvt_f32_u32_e32 v2, s24
	v_cvt_f32_u32_e32 v3, s25
	s_sub_u32 s0, 0, s24
	s_subb_u32 s26, 0, s25
	v_fmac_f32_e32 v2, 0x4f800000, v3
	v_rcp_f32_e32 v2, v2
	v_mul_f32_e32 v2, 0x5f7ffffc, v2
	v_mul_f32_e32 v3, 0x2f800000, v2
	v_trunc_f32_e32 v3, v3
	v_fmac_f32_e32 v2, 0xcf800000, v3
	v_cvt_u32_f32_e32 v3, v3
	v_cvt_u32_f32_e32 v2, v2
	v_mul_lo_u32 v8, s0, v3
	v_mul_hi_u32 v9, s0, v2
	v_mul_lo_u32 v10, s26, v2
	v_add_nc_u32_e32 v8, v9, v8
	v_mul_lo_u32 v9, s0, v2
	v_add_nc_u32_e32 v8, v8, v10
	v_mul_hi_u32 v10, v2, v9
	v_mul_lo_u32 v11, v2, v8
	v_mul_hi_u32 v12, v2, v8
	v_mul_hi_u32 v13, v3, v9
	v_mul_lo_u32 v9, v3, v9
	v_mul_hi_u32 v14, v3, v8
	v_mul_lo_u32 v8, v3, v8
	v_add_co_u32 v10, vcc_lo, v10, v11
	v_add_co_ci_u32_e32 v11, vcc_lo, 0, v12, vcc_lo
	v_add_co_u32 v9, vcc_lo, v10, v9
	v_add_co_ci_u32_e32 v9, vcc_lo, v11, v13, vcc_lo
	v_add_co_ci_u32_e32 v10, vcc_lo, 0, v14, vcc_lo
	v_add_co_u32 v8, vcc_lo, v9, v8
	v_add_co_ci_u32_e32 v9, vcc_lo, 0, v10, vcc_lo
	v_add_co_u32 v2, vcc_lo, v2, v8
	v_add_co_ci_u32_e32 v3, vcc_lo, v3, v9, vcc_lo
	v_mul_hi_u32 v8, s0, v2
	v_mul_lo_u32 v10, s26, v2
	v_mul_lo_u32 v9, s0, v3
	v_add_nc_u32_e32 v8, v8, v9
	v_mul_lo_u32 v9, s0, v2
	v_add_nc_u32_e32 v8, v8, v10
	v_mul_hi_u32 v10, v2, v9
	v_mul_lo_u32 v11, v2, v8
	v_mul_hi_u32 v12, v2, v8
	v_mul_hi_u32 v13, v3, v9
	v_mul_lo_u32 v9, v3, v9
	v_mul_hi_u32 v14, v3, v8
	v_mul_lo_u32 v8, v3, v8
	v_add_co_u32 v10, vcc_lo, v10, v11
	v_add_co_ci_u32_e32 v11, vcc_lo, 0, v12, vcc_lo
	v_add_co_u32 v9, vcc_lo, v10, v9
	v_add_co_ci_u32_e32 v9, vcc_lo, v11, v13, vcc_lo
	v_add_co_ci_u32_e32 v10, vcc_lo, 0, v14, vcc_lo
	v_add_co_u32 v8, vcc_lo, v9, v8
	v_add_co_ci_u32_e32 v9, vcc_lo, 0, v10, vcc_lo
	v_add_co_u32 v8, vcc_lo, v2, v8
	v_add_co_ci_u32_e32 v10, vcc_lo, v3, v9, vcc_lo
	v_mul_hi_u32 v12, v6, v8
	v_mad_u64_u32 v[8:9], null, v7, v8, 0
	v_mad_u64_u32 v[2:3], null, v6, v10, 0
	v_mad_u64_u32 v[10:11], null, v7, v10, 0
	v_add_co_u32 v2, vcc_lo, v12, v2
	v_add_co_ci_u32_e32 v3, vcc_lo, 0, v3, vcc_lo
	v_add_co_u32 v2, vcc_lo, v2, v8
	v_add_co_ci_u32_e32 v2, vcc_lo, v3, v9, vcc_lo
	v_add_co_ci_u32_e32 v3, vcc_lo, 0, v11, vcc_lo
	v_add_co_u32 v8, vcc_lo, v2, v10
	v_add_co_ci_u32_e32 v9, vcc_lo, 0, v3, vcc_lo
	v_mul_lo_u32 v10, s25, v8
	v_mad_u64_u32 v[2:3], null, s24, v8, 0
	v_mul_lo_u32 v11, s24, v9
	v_sub_co_u32 v2, vcc_lo, v6, v2
	v_add3_u32 v3, v3, v11, v10
	v_sub_nc_u32_e32 v10, v7, v3
	v_subrev_co_ci_u32_e64 v10, s0, s25, v10, vcc_lo
	v_add_co_u32 v11, s0, v8, 2
	v_add_co_ci_u32_e64 v12, s0, 0, v9, s0
	v_sub_co_u32 v13, s0, v2, s24
	v_sub_co_ci_u32_e32 v3, vcc_lo, v7, v3, vcc_lo
	v_subrev_co_ci_u32_e64 v10, s0, 0, v10, s0
	v_cmp_le_u32_e32 vcc_lo, s24, v13
	v_cmp_eq_u32_e64 s0, s25, v3
	v_cndmask_b32_e64 v13, 0, -1, vcc_lo
	v_cmp_le_u32_e32 vcc_lo, s25, v10
	v_cndmask_b32_e64 v14, 0, -1, vcc_lo
	v_cmp_le_u32_e32 vcc_lo, s24, v2
	;; [unrolled: 2-line block ×3, first 2 shown]
	v_cndmask_b32_e64 v15, 0, -1, vcc_lo
	v_cmp_eq_u32_e32 vcc_lo, s25, v10
	v_cndmask_b32_e64 v2, v15, v2, s0
	v_cndmask_b32_e32 v10, v14, v13, vcc_lo
	v_add_co_u32 v13, vcc_lo, v8, 1
	v_add_co_ci_u32_e32 v14, vcc_lo, 0, v9, vcc_lo
	v_cmp_ne_u32_e32 vcc_lo, 0, v10
	v_cndmask_b32_e32 v3, v14, v12, vcc_lo
	v_cndmask_b32_e32 v10, v13, v11, vcc_lo
	v_cmp_ne_u32_e32 vcc_lo, 0, v2
	v_cndmask_b32_e32 v63, v9, v3, vcc_lo
	v_cndmask_b32_e32 v62, v8, v10, vcc_lo
.LBB0_4:                                ;   in Loop: Header=BB0_2 Depth=1
	s_andn2_saveexec_b32 s0, s1
	s_cbranch_execz .LBB0_6
; %bb.5:                                ;   in Loop: Header=BB0_2 Depth=1
	v_cvt_f32_u32_e32 v2, s24
	s_sub_i32 s1, 0, s24
	v_mov_b32_e32 v63, v1
	v_rcp_iflag_f32_e32 v2, v2
	v_mul_f32_e32 v2, 0x4f7ffffe, v2
	v_cvt_u32_f32_e32 v2, v2
	v_mul_lo_u32 v3, s1, v2
	v_mul_hi_u32 v3, v2, v3
	v_add_nc_u32_e32 v2, v2, v3
	v_mul_hi_u32 v2, v6, v2
	v_mul_lo_u32 v3, v2, s24
	v_add_nc_u32_e32 v8, 1, v2
	v_sub_nc_u32_e32 v3, v6, v3
	v_subrev_nc_u32_e32 v9, s24, v3
	v_cmp_le_u32_e32 vcc_lo, s24, v3
	v_cndmask_b32_e32 v3, v3, v9, vcc_lo
	v_cndmask_b32_e32 v2, v2, v8, vcc_lo
	v_cmp_le_u32_e32 vcc_lo, s24, v3
	v_add_nc_u32_e32 v8, 1, v2
	v_cndmask_b32_e32 v62, v2, v8, vcc_lo
.LBB0_6:                                ;   in Loop: Header=BB0_2 Depth=1
	s_or_b32 exec_lo, exec_lo, s0
	v_mul_lo_u32 v8, v63, s24
	v_mul_lo_u32 v9, v62, s25
	s_load_dwordx2 s[0:1], s[6:7], 0x0
	v_mad_u64_u32 v[2:3], null, v62, s24, 0
	s_load_dwordx2 s[24:25], s[2:3], 0x0
	s_add_u32 s22, s22, 1
	s_addc_u32 s23, s23, 0
	s_add_u32 s2, s2, 8
	s_addc_u32 s3, s3, 0
	s_add_u32 s6, s6, 8
	v_add3_u32 v3, v3, v9, v8
	v_sub_co_u32 v2, vcc_lo, v6, v2
	s_addc_u32 s7, s7, 0
	s_add_u32 s20, s20, 8
	v_sub_co_ci_u32_e32 v3, vcc_lo, v7, v3, vcc_lo
	s_addc_u32 s21, s21, 0
	s_waitcnt lgkmcnt(0)
	v_mul_lo_u32 v6, s0, v3
	v_mul_lo_u32 v7, s1, v2
	v_mad_u64_u32 v[4:5], null, s0, v2, v[4:5]
	v_mul_lo_u32 v3, s24, v3
	v_mul_lo_u32 v8, s25, v2
	v_mad_u64_u32 v[60:61], null, s24, v2, v[60:61]
	v_cmp_ge_u64_e64 s0, s[22:23], s[14:15]
	v_add3_u32 v5, v7, v5, v6
	v_add3_u32 v61, v8, v61, v3
	s_and_b32 vcc_lo, exec_lo, s0
	s_cbranch_vccnz .LBB0_9
; %bb.7:                                ;   in Loop: Header=BB0_2 Depth=1
	v_mov_b32_e32 v6, v62
	v_mov_b32_e32 v7, v63
	s_branch .LBB0_2
.LBB0_8:
	v_mov_b32_e32 v61, v5
	v_mov_b32_e32 v63, v7
	;; [unrolled: 1-line block ×4, first 2 shown]
.LBB0_9:
	s_load_dwordx2 s[0:1], s[4:5], 0x28
	v_mul_hi_u32 v1, 0x97b425f, v0
	s_lshl_b64 s[4:5], s[14:15], 3
                                        ; implicit-def: $vgpr64
	s_add_u32 s2, s18, s4
	s_addc_u32 s3, s19, s5
	s_waitcnt lgkmcnt(0)
	v_cmp_gt_u64_e32 vcc_lo, s[0:1], v[62:63]
	v_cmp_le_u64_e64 s0, s[0:1], v[62:63]
	s_and_saveexec_b32 s1, s0
	s_xor_b32 s0, exec_lo, s1
; %bb.10:
	v_mul_u32_u24_e32 v1, 27, v1
                                        ; implicit-def: $vgpr4_vgpr5
	v_sub_nc_u32_e32 v64, v0, v1
                                        ; implicit-def: $vgpr1
                                        ; implicit-def: $vgpr0
; %bb.11:
	s_or_saveexec_b32 s1, s0
                                        ; implicit-def: $vgpr2_vgpr3
                                        ; implicit-def: $vgpr6_vgpr7
                                        ; implicit-def: $vgpr18_vgpr19
                                        ; implicit-def: $vgpr10_vgpr11
                                        ; implicit-def: $vgpr14_vgpr15
                                        ; implicit-def: $vgpr30_vgpr31
                                        ; implicit-def: $vgpr50_vgpr51
                                        ; implicit-def: $vgpr42_vgpr43
                                        ; implicit-def: $vgpr46_vgpr47
                                        ; implicit-def: $vgpr22_vgpr23
                                        ; implicit-def: $vgpr34_vgpr35
                                        ; implicit-def: $vgpr54_vgpr55
                                        ; implicit-def: $vgpr58_vgpr59
                                        ; implicit-def: $vgpr38_vgpr39
                                        ; implicit-def: $vgpr26_vgpr27
	s_xor_b32 exec_lo, exec_lo, s1
	s_cbranch_execz .LBB0_13
; %bb.12:
	s_add_u32 s4, s16, s4
	s_addc_u32 s5, s17, s5
	s_load_dwordx2 s[4:5], s[4:5], 0x0
	s_waitcnt lgkmcnt(0)
	v_mul_lo_u32 v6, s5, v62
	v_mul_lo_u32 v7, s4, v63
	v_mad_u64_u32 v[2:3], null, s4, v62, 0
	v_add3_u32 v3, v3, v7, v6
	v_mul_u32_u24_e32 v6, 27, v1
	v_lshlrev_b64 v[1:2], 4, v[2:3]
	v_lshlrev_b64 v[3:4], 4, v[4:5]
	v_sub_nc_u32_e32 v64, v0, v6
	v_add_co_u32 v0, s0, s8, v1
	v_add_co_ci_u32_e64 v1, s0, s9, v2, s0
	v_lshlrev_b32_e32 v2, 4, v64
	v_add_co_u32 v0, s0, v0, v3
	v_add_co_ci_u32_e64 v1, s0, v1, v4, s0
	v_add_co_u32 v0, s0, v0, v2
	v_add_co_ci_u32_e64 v1, s0, 0, v1, s0
	;; [unrolled: 2-line block ×4, first 2 shown]
	s_clause 0xe
	global_load_dwordx4 v[24:27], v[0:1], off
	global_load_dwordx4 v[20:23], v[0:1], off offset:432
	global_load_dwordx4 v[36:39], v[0:1], off offset:1296
	;; [unrolled: 1-line block ×14, first 2 shown]
.LBB0_13:
	s_or_b32 exec_lo, exec_lo, s1
	s_waitcnt vmcnt(12)
	v_add_f64 v[66:67], v[36:37], v[24:25]
	v_add_f64 v[68:69], v[38:39], v[26:27]
	s_waitcnt vmcnt(6)
	v_add_f64 v[70:71], v[44:45], v[20:21]
	v_add_f64 v[72:73], v[46:47], v[22:23]
	;; [unrolled: 3-line block ×3, first 2 shown]
	v_add_f64 v[78:79], v[54:55], v[58:59]
	v_add_f64 v[80:81], v[34:35], v[38:39]
	s_waitcnt vmcnt(2)
	v_add_f64 v[98:99], v[48:49], v[40:41]
	v_add_f64 v[82:83], v[38:39], -v[34:35]
	v_add_f64 v[88:89], v[38:39], -v[58:59]
	;; [unrolled: 1-line block ×3, first 2 shown]
	v_add_f64 v[100:101], v[28:29], v[44:45]
	v_add_f64 v[102:103], v[50:51], v[42:43]
	v_add_f64 v[84:85], v[36:37], -v[56:57]
	v_add_f64 v[86:87], v[56:57], -v[36:37]
	;; [unrolled: 1-line block ×7, first 2 shown]
	v_add_f64 v[104:105], v[30:31], v[46:47]
	v_add_f64 v[66:67], v[56:57], v[66:67]
	;; [unrolled: 1-line block ×5, first 2 shown]
	v_add_f64 v[58:59], v[58:59], -v[54:55]
	v_fma_f64 v[74:75], v[74:75], -0.5, v[24:25]
	v_fma_f64 v[24:25], v[76:77], -0.5, v[24:25]
	v_add_f64 v[56:57], v[56:57], -v[52:53]
	v_add_f64 v[106:107], v[46:47], -v[30:31]
	s_mov_b32 s4, 0x134454ff
	s_mov_b32 s5, 0x3fee6f0e
	;; [unrolled: 1-line block ×4, first 2 shown]
	v_add_f64 v[108:109], v[44:45], -v[40:41]
	v_add_f64 v[110:111], v[40:41], -v[44:45]
	;; [unrolled: 1-line block ×5, first 2 shown]
	s_mov_b32 s6, 0x4755a5e
	s_mov_b32 s7, 0x3fe2cf23
	;; [unrolled: 1-line block ×4, first 2 shown]
	v_add_f64 v[52:53], v[52:53], v[66:67]
	v_add_f64 v[54:55], v[54:55], v[68:69]
	v_fma_f64 v[68:69], v[78:79], -0.5, v[26:27]
	v_fma_f64 v[26:27], v[80:81], -0.5, v[26:27]
	v_add_f64 v[70:71], v[48:49], v[70:71]
	v_add_f64 v[72:73], v[50:51], v[72:73]
	v_fma_f64 v[80:81], v[98:99], -0.5, v[20:21]
	v_fma_f64 v[20:21], v[100:101], -0.5, v[20:21]
	;; [unrolled: 1-line block ×3, first 2 shown]
	v_fma_f64 v[100:101], v[82:83], s[4:5], v[74:75]
	v_fma_f64 v[74:75], v[82:83], s[0:1], v[74:75]
	;; [unrolled: 1-line block ×4, first 2 shown]
	v_add_f64 v[66:67], v[46:47], -v[42:43]
	v_add_f64 v[46:47], v[42:43], -v[46:47]
	;; [unrolled: 1-line block ×4, first 2 shown]
	v_fma_f64 v[22:23], v[104:105], -0.5, v[22:23]
	v_add_f64 v[78:79], v[30:31], -v[50:51]
	v_add_f64 v[50:51], v[50:51], -v[30:31]
	v_add_f64 v[86:87], v[92:93], v[86:87]
	s_mov_b32 s14, 0x372fe950
	v_add_f64 v[32:33], v[32:33], v[52:53]
	v_add_f64 v[52:53], v[34:35], v[54:55]
	v_fma_f64 v[104:105], v[36:37], s[0:1], v[68:69]
	v_fma_f64 v[68:69], v[36:37], s[4:5], v[68:69]
	v_add_f64 v[28:29], v[28:29], v[70:71]
	v_add_f64 v[54:55], v[30:31], v[72:73]
	v_fma_f64 v[70:71], v[106:107], s[4:5], v[80:81]
	v_fma_f64 v[72:73], v[106:107], s[0:1], v[80:81]
	v_fma_f64 v[34:35], v[56:57], s[4:5], v[26:27]
	v_add_f64 v[30:31], v[90:91], v[84:85]
	v_fma_f64 v[26:27], v[56:57], s[0:1], v[26:27]
	v_fma_f64 v[84:85], v[58:59], s[6:7], v[100:101]
	;; [unrolled: 1-line block ×3, first 2 shown]
	s_waitcnt vmcnt(0)
	v_add_f64 v[74:75], v[0:1], v[8:9]
	v_fma_f64 v[90:91], v[82:83], s[6:7], v[102:103]
	v_fma_f64 v[24:25], v[82:83], s[8:9], v[24:25]
	v_add_f64 v[82:83], v[4:5], v[16:17]
	v_fma_f64 v[80:81], v[42:43], s[0:1], v[20:21]
	v_fma_f64 v[20:21], v[42:43], s[4:5], v[20:21]
	s_mov_b32 s15, 0x3fd3c6ef
	v_add_f64 v[88:89], v[94:95], v[88:89]
	v_add_f64 v[38:39], v[96:97], v[38:39]
	;; [unrolled: 1-line block ×3, first 2 shown]
	v_add_f64 v[96:97], v[8:9], -v[0:1]
	v_fma_f64 v[92:93], v[56:57], s[8:9], v[104:105]
	v_fma_f64 v[56:57], v[56:57], s[6:7], v[68:69]
	v_add_f64 v[68:69], v[6:7], v[18:19]
	v_fma_f64 v[100:101], v[40:41], s[4:5], v[22:23]
	v_fma_f64 v[70:71], v[42:43], s[6:7], v[70:71]
	;; [unrolled: 1-line block ×3, first 2 shown]
	v_add_f64 v[72:73], v[2:3], v[10:11]
	v_fma_f64 v[34:35], v[36:37], s[8:9], v[34:35]
	v_fma_f64 v[26:27], v[36:37], s[6:7], v[26:27]
	v_fma_f64 v[84:85], v[30:31], s[14:15], v[84:85]
	v_fma_f64 v[30:31], v[30:31], s[14:15], v[58:59]
	v_fma_f64 v[74:75], v[74:75], -0.5, v[12:13]
	v_add_f64 v[58:59], v[8:9], v[12:13]
	v_add_f64 v[36:37], v[76:77], v[108:109]
	v_fma_f64 v[12:13], v[82:83], -0.5, v[12:13]
	v_add_f64 v[82:83], v[10:11], -v[2:3]
	v_fma_f64 v[76:77], v[106:107], s[6:7], v[80:81]
	v_add_f64 v[80:81], v[18:19], -v[6:7]
	v_fma_f64 v[22:23], v[40:41], s[0:1], v[22:23]
	v_add_f64 v[48:49], v[48:49], v[110:111]
	v_fma_f64 v[20:21], v[106:107], s[8:9], v[20:21]
	v_add_f64 v[106:107], v[10:11], -v[18:19]
	v_fma_f64 v[92:93], v[88:89], s[14:15], v[92:93]
	v_fma_f64 v[56:57], v[88:89], s[14:15], v[56:57]
	v_fma_f64 v[68:69], v[68:69], -0.5, v[14:15]
	v_add_f64 v[10:11], v[18:19], -v[10:11]
	v_add_f64 v[108:109], v[2:3], -v[6:7]
	v_add_f64 v[18:19], v[18:19], v[94:95]
	v_fma_f64 v[14:15], v[72:73], -0.5, v[14:15]
	v_add_f64 v[72:73], v[16:17], -v[4:5]
	v_fma_f64 v[88:89], v[38:39], s[14:15], v[34:35]
	v_fma_f64 v[38:39], v[38:39], s[14:15], v[26:27]
	v_add_f64 v[26:27], v[16:17], -v[8:9]
	v_add_f64 v[8:9], v[8:9], -v[16:17]
	v_add_f64 v[16:17], v[16:17], v[58:59]
	v_add_f64 v[58:59], v[0:1], -v[4:5]
	v_add_f64 v[34:35], v[4:5], -v[0:1]
	v_fma_f64 v[104:105], v[82:83], s[4:5], v[12:13]
	v_fma_f64 v[12:13], v[82:83], s[0:1], v[12:13]
	;; [unrolled: 1-line block ×4, first 2 shown]
	v_add_f64 v[110:111], v[6:7], -v[2:3]
	v_add_f64 v[66:67], v[78:79], v[66:67]
	v_fma_f64 v[90:91], v[86:87], s[14:15], v[90:91]
	v_fma_f64 v[24:25], v[86:87], s[14:15], v[24:25]
	;; [unrolled: 1-line block ×7, first 2 shown]
	v_add_f64 v[6:7], v[6:7], v[18:19]
	v_fma_f64 v[78:79], v[72:73], s[4:5], v[14:15]
	v_fma_f64 v[14:15], v[72:73], s[0:1], v[14:15]
	;; [unrolled: 1-line block ×5, first 2 shown]
	v_add_f64 v[4:5], v[4:5], v[16:17]
	v_add_f64 v[8:9], v[58:59], v[8:9]
	;; [unrolled: 1-line block ×3, first 2 shown]
	v_fma_f64 v[16:17], v[80:81], s[6:7], v[104:105]
	v_fma_f64 v[12:13], v[80:81], s[8:9], v[12:13]
	;; [unrolled: 1-line block ×5, first 2 shown]
	v_and_b32_e32 v44, 3, v65
	v_add_f64 v[80:81], v[108:109], v[106:107]
	v_add_f64 v[10:11], v[110:111], v[10:11]
	v_fma_f64 v[20:21], v[48:49], s[14:15], v[20:21]
	v_fma_f64 v[18:19], v[72:73], s[8:9], v[94:95]
	v_fma_f64 v[68:69], v[72:73], s[6:7], v[68:69]
	v_mul_u32_u24_e32 v44, 0x195, v44
	v_add_f64 v[50:51], v[50:51], v[46:47]
	v_fma_f64 v[86:87], v[40:41], s[8:9], v[86:87]
	v_fma_f64 v[72:73], v[96:97], s[8:9], v[78:79]
	;; [unrolled: 1-line block ×3, first 2 shown]
	v_lshlrev_b32_e32 v46, 3, v44
	v_fma_f64 v[40:41], v[40:41], s[6:7], v[98:99]
	s_load_dwordx2 s[4:5], s[2:3], 0x0
	v_add_f64 v[0:1], v[0:1], v[4:5]
	v_mov_b32_e32 v48, 5
	v_add_nc_u32_e32 v45, 0, v46
	v_fma_f64 v[4:5], v[8:9], s[14:15], v[16:17]
	v_fma_f64 v[8:9], v[8:9], s[14:15], v[12:13]
	v_fma_f64 v[34:35], v[26:27], s[14:15], v[34:35]
	v_fma_f64 v[26:27], v[26:27], s[14:15], v[74:75]
	v_mad_u32_u24 v44, v64, 40, v45
	ds_write2_b64 v44, v[32:33], v[84:85] offset1:1
	ds_write2_b64 v44, v[90:91], v[24:25] offset0:2 offset1:3
	ds_write2_b64 v44, v[28:29], v[70:71] offset0:135 offset1:136
	v_fma_f64 v[76:77], v[80:81], s[14:15], v[18:19]
	v_fma_f64 v[78:79], v[80:81], s[14:15], v[68:69]
	ds_write2_b64 v44, v[42:43], v[20:21] offset0:137 offset1:138
	ds_write2_b64 v44, v[30:31], v[36:37] offset0:4 offset1:139
	v_fma_f64 v[12:13], v[66:67], s[14:15], v[86:87]
	v_fma_f64 v[72:73], v[10:11], s[14:15], v[72:73]
	;; [unrolled: 1-line block ×3, first 2 shown]
	v_add_nc_u32_e32 v10, 0x870, v44
	v_add_nc_u32_e32 v14, 0x880, v44
	ds_write2_b64 v10, v[0:1], v[4:5] offset1:1
	ds_write2_b64 v14, v[34:35], v[26:27] offset1:1
	ds_write_b64 v44, v[8:9] offset:2192
	v_and_b32_e32 v0, 0xff, v64
	v_fma_f64 v[58:59], v[50:51], s[14:15], v[58:59]
	v_fma_f64 v[49:50], v[50:51], s[14:15], v[22:23]
	v_add_f64 v[74:75], v[2:3], v[6:7]
	v_fma_f64 v[40:41], v[66:67], s[14:15], v[40:41]
	v_mul_lo_u16 v4, 0xcd, v0
	v_lshlrev_b32_e32 v2, 3, v64
	v_add_nc_u32_e32 v42, 27, v64
	s_waitcnt lgkmcnt(0)
	s_barrier
	v_lshrrev_b16 v105, 10, v4
	v_add3_u32 v65, 0, v2, v46
	v_add_nc_u32_e32 v66, v45, v2
	buffer_gl0_inv
	v_add_nc_u32_e32 v43, 54, v64
	v_mul_lo_u16 v11, v105, 5
	v_add_nc_u32_e32 v68, 0x400, v65
	v_add_nc_u32_e32 v67, 0x800, v65
	ds_read_b64 v[8:9], v66
	ds_read2_b64 v[15:18], v65 offset0:135 offset1:162
	v_sub_nc_u16 v106, v64, v11
	v_and_b32_e32 v11, 0xff, v42
	ds_read2_b64 v[19:22], v68 offset0:115 offset1:142
	ds_read2_b64 v[0:3], v65 offset0:27 offset1:54
	;; [unrolled: 1-line block ×6, first 2 shown]
	s_waitcnt lgkmcnt(0)
	s_barrier
	buffer_gl0_inv
	ds_write2_b64 v44, v[52:53], v[92:93] offset1:1
	ds_write2_b64 v44, v[88:89], v[38:39] offset0:2 offset1:3
	ds_write2_b64 v44, v[54:55], v[12:13] offset0:135 offset1:136
	v_lshlrev_b32_sdwa v39, v48, v106 dst_sel:DWORD dst_unused:UNUSED_PAD src0_sel:DWORD src1_sel:BYTE_0
	ds_write2_b64 v44, v[58:59], v[49:50] offset0:137 offset1:138
	ds_write2_b64 v44, v[56:57], v[40:41] offset0:4 offset1:139
	ds_write2_b64 v10, v[74:75], v[76:77] offset1:1
	ds_write2_b64 v14, v[72:73], v[80:81] offset1:1
	v_mul_lo_u16 v10, 0xcd, v11
	ds_write_b64 v44, v[78:79] offset:2192
	s_waitcnt lgkmcnt(0)
	s_barrier
	buffer_gl0_inv
	global_load_dwordx4 v[35:38], v39, s[12:13]
	v_lshrrev_b16 v41, 10, v10
	v_add_nc_u32_e32 v44, 0x51, v64
	v_add_nc_u32_e32 v47, 0x6c, v64
	v_mul_lo_u16 v11, 0x89, v11
	s_mov_b32 s2, 0xe8584caa
	v_mul_lo_u16 v10, v41, 5
	v_and_b32_e32 v50, 0xff, v44
	v_and_b32_e32 v51, 0xff, v47
	;; [unrolled: 1-line block ×3, first 2 shown]
	s_mov_b32 s3, 0x3febb67a
	v_sub_nc_u16 v12, v42, v10
	v_and_b32_e32 v10, 0xff, v43
	v_mul_lo_u16 v77, 0xcd, v51
	v_mad_u32_u24 v41, 0x78, v41, 0
	s_mov_b32 s7, 0xbfebb67a
	v_lshlrev_b32_sdwa v40, v48, v12 dst_sel:DWORD dst_unused:UNUSED_PAD src0_sel:DWORD src1_sel:BYTE_0
	v_mul_lo_u16 v13, 0xcd, v10
	v_lshrrev_b16 v108, 10, v77
	s_mov_b32 s6, s2
	v_cmp_gt_u32_e64 s0, 15, v64
	global_load_dwordx4 v[52:55], v40, s[12:13]
	v_lshrrev_b16 v14, 10, v13
	v_mul_lo_u16 v13, v14, 5
	v_sub_nc_u16 v13, v43, v13
	v_lshlrev_b32_sdwa v49, v48, v13 dst_sel:DWORD dst_unused:UNUSED_PAD src0_sel:DWORD src1_sel:BYTE_0
	s_clause 0x1
	global_load_dwordx4 v[56:59], v40, s[12:13] offset:16
	global_load_dwordx4 v[69:72], v49, s[12:13] offset:16
	v_mul_lo_u16 v40, 0xcd, v50
	global_load_dwordx4 v[73:76], v39, s[12:13] offset:16
	v_lshrrev_b16 v107, 10, v40
	v_mul_lo_u16 v40, v108, 5
	v_mul_lo_u16 v39, v107, 5
	v_sub_nc_u16 v110, v47, v40
	v_sub_nc_u16 v109, v44, v39
	v_lshlrev_b32_sdwa v40, v48, v110 dst_sel:DWORD dst_unused:UNUSED_PAD src0_sel:DWORD src1_sel:BYTE_0
	v_lshlrev_b32_sdwa v39, v48, v109 dst_sel:DWORD dst_unused:UNUSED_PAD src0_sel:DWORD src1_sel:BYTE_0
	s_clause 0x4
	global_load_dwordx4 v[77:80], v49, s[12:13]
	global_load_dwordx4 v[81:84], v39, s[12:13]
	;; [unrolled: 1-line block ×3, first 2 shown]
	global_load_dwordx4 v[89:92], v39, s[12:13] offset:16
	global_load_dwordx4 v[93:96], v40, s[12:13] offset:16
	ds_read2_b64 v[97:100], v65 offset0:135 offset1:162
	v_and_b32_e32 v49, 0xffff, v105
	s_waitcnt vmcnt(9) lgkmcnt(0)
	v_mul_f64 v[39:40], v[97:98], v[37:38]
	v_mul_f64 v[37:38], v[15:16], v[37:38]
	s_waitcnt vmcnt(8)
	v_mul_f64 v[101:102], v[99:100], v[54:55]
	v_fma_f64 v[39:40], v[15:16], v[35:36], -v[39:40]
	v_fma_f64 v[97:98], v[97:98], v[35:36], v[37:38]
	ds_read2_b64 v[35:38], v67 offset0:41 offset1:68
	v_mul_f64 v[15:16], v[17:18], v[54:55]
	v_fma_f64 v[101:102], v[17:18], v[52:53], -v[101:102]
	s_waitcnt vmcnt(7) lgkmcnt(0)
	v_mul_f64 v[54:55], v[35:36], v[58:59]
	v_mul_f64 v[58:59], v[23:24], v[58:59]
	v_fma_f64 v[99:100], v[99:100], v[52:53], v[15:16]
	ds_read2_b64 v[15:18], v68 offset0:115 offset1:142
	s_waitcnt vmcnt(6)
	v_mul_f64 v[52:53], v[37:38], v[71:72]
	v_mul_f64 v[71:72], v[25:26], v[71:72]
	v_fma_f64 v[103:104], v[23:24], v[56:57], -v[54:55]
	v_fma_f64 v[35:36], v[35:36], v[56:57], v[58:59]
	s_waitcnt vmcnt(5) lgkmcnt(0)
	v_mul_f64 v[23:24], v[17:18], v[75:76]
	ds_read2_b64 v[54:57], v65 offset0:189 offset1:216
	v_fma_f64 v[25:26], v[25:26], v[69:70], -v[52:53]
	v_mul_f64 v[52:53], v[21:22], v[75:76]
	v_fma_f64 v[37:38], v[37:38], v[69:70], v[71:72]
	s_waitcnt vmcnt(2)
	v_mul_f64 v[71:72], v[15:16], v[87:88]
	s_waitcnt lgkmcnt(0)
	v_mul_f64 v[58:59], v[54:55], v[79:80]
	v_mul_f64 v[69:70], v[56:57], v[83:84]
	v_fma_f64 v[75:76], v[21:22], v[73:74], -v[23:24]
	ds_read2_b64 v[21:24], v67 offset0:95 offset1:122
	v_fma_f64 v[73:74], v[17:18], v[73:74], v[52:53]
	v_mul_f64 v[17:18], v[27:28], v[79:80]
	v_fma_f64 v[27:28], v[27:28], v[77:78], -v[58:59]
	s_waitcnt vmcnt(1) lgkmcnt(0)
	v_mul_f64 v[52:53], v[21:22], v[91:92]
	v_fma_f64 v[58:59], v[29:30], v[81:82], -v[69:70]
	v_mul_f64 v[69:70], v[19:20], v[87:88]
	v_fma_f64 v[19:20], v[19:20], v[85:86], -v[71:72]
	s_waitcnt vmcnt(0)
	v_mul_f64 v[71:72], v[23:24], v[95:96]
	v_mul_f64 v[29:30], v[29:30], v[83:84]
	v_fma_f64 v[54:55], v[54:55], v[77:78], v[17:18]
	v_add_f64 v[77:78], v[101:102], v[103:104]
	v_add_f64 v[87:88], v[97:98], -v[73:74]
	v_fma_f64 v[79:80], v[31:32], v[89:90], -v[52:53]
	v_mul_f64 v[31:32], v[31:32], v[91:92]
	v_mad_u32_u24 v52, 0x78, v49, 0
	v_mov_b32_e32 v49, 3
	v_fma_f64 v[71:72], v[33:34], v[93:94], -v[71:72]
	v_mul_f64 v[33:34], v[33:34], v[95:96]
	v_fma_f64 v[29:30], v[56:57], v[81:82], v[29:30]
	v_fma_f64 v[56:57], v[15:16], v[85:86], v[69:70]
	v_lshlrev_b32_sdwa v53, v49, v106 dst_sel:DWORD dst_unused:UNUSED_PAD src0_sel:DWORD src1_sel:BYTE_0
	v_lshlrev_b32_sdwa v84, v49, v110 dst_sel:DWORD dst_unused:UNUSED_PAD src0_sel:DWORD src1_sel:BYTE_0
	;; [unrolled: 1-line block ×4, first 2 shown]
	v_add_f64 v[95:96], v[97:98], v[73:74]
	v_add3_u32 v111, v52, v53, v46
	v_and_b32_e32 v53, 0xffff, v108
	v_lshrrev_b16 v52, 11, v11
	v_and_b32_e32 v11, 0xffff, v14
	v_and_b32_e32 v14, 0xffff, v107
	v_add3_u32 v41, v41, v12, v46
	v_mad_u32_u24 v83, 0x78, v53, 0
	v_mul_lo_u16 v12, v52, 15
	v_mad_u32_u24 v11, 0x78, v11, 0
	v_add_f64 v[69:70], v[58:59], v[79:80]
	v_fma_f64 v[21:22], v[21:22], v[89:90], v[31:32]
	v_add3_u32 v112, v83, v84, v46
	v_add_f64 v[83:84], v[27:28], v[25:26]
	v_add_f64 v[81:82], v[19:20], v[71:72]
	v_fma_f64 v[23:24], v[23:24], v[93:94], v[33:34]
	v_mad_u32_u24 v14, 0x78, v14, 0
	v_sub_nc_u16 v53, v42, v12
	v_lshlrev_b32_sdwa v12, v49, v109 dst_sel:DWORD dst_unused:UNUSED_PAD src0_sel:DWORD src1_sel:BYTE_0
	v_add_f64 v[31:32], v[39:40], v[75:76]
	v_add_f64 v[85:86], v[8:9], v[39:40]
	v_add_f64 v[93:94], v[99:100], v[35:36]
	v_mul_lo_u16 v107, 0x89, v10
	v_add3_u32 v108, v11, v13, v46
	v_add3_u32 v110, v14, v12, v46
	ds_read_b64 v[33:34], v66
	ds_read2_b64 v[10:13], v65 offset0:27 offset1:54
	ds_read2_b64 v[14:17], v65 offset0:81 offset1:108
	v_add_f64 v[105:106], v[54:55], v[37:38]
	v_add_f64 v[89:90], v[0:1], v[101:102]
	v_fma_f64 v[0:1], v[77:78], -0.5, v[0:1]
	v_add_f64 v[77:78], v[4:5], v[58:59]
	v_add_f64 v[91:92], v[2:3], v[27:28]
	v_add_f64 v[39:40], v[39:40], -v[75:76]
	v_fma_f64 v[4:5], v[69:70], -0.5, v[4:5]
	v_add_f64 v[69:70], v[29:30], v[21:22]
	v_add_f64 v[101:102], v[101:102], -v[103:104]
	v_fma_f64 v[2:3], v[83:84], -0.5, v[2:3]
	v_add_f64 v[83:84], v[6:7], v[19:20]
	v_fma_f64 v[6:7], v[81:82], -0.5, v[6:7]
	v_add_f64 v[81:82], v[56:57], v[23:24]
	v_add_f64 v[27:28], v[27:28], -v[25:26]
	v_add_f64 v[58:59], v[58:59], -v[79:80]
	v_fma_f64 v[8:9], v[31:32], -0.5, v[8:9]
	v_add_f64 v[75:76], v[85:86], v[75:76]
	s_waitcnt lgkmcnt(2)
	v_add_f64 v[97:98], v[33:34], v[97:98]
	s_waitcnt lgkmcnt(1)
	v_add_f64 v[31:32], v[10:11], v[99:100]
	v_fma_f64 v[33:34], v[95:96], -0.5, v[33:34]
	v_add_f64 v[85:86], v[12:13], v[54:55]
	v_add_f64 v[99:100], v[99:100], -v[35:36]
	v_fma_f64 v[10:11], v[93:94], -0.5, v[10:11]
	v_add_f64 v[54:55], v[54:55], -v[37:38]
	v_fma_f64 v[12:13], v[105:106], -0.5, v[12:13]
	v_add_f64 v[89:90], v[89:90], v[103:104]
	s_waitcnt lgkmcnt(0)
	v_add_f64 v[103:104], v[14:15], v[29:30]
	v_add_f64 v[29:30], v[29:30], -v[21:22]
	v_add_f64 v[95:96], v[16:17], v[56:57]
	v_add_f64 v[56:57], v[56:57], -v[23:24]
	v_fma_f64 v[14:15], v[69:70], -0.5, v[14:15]
	v_add_f64 v[18:19], v[19:20], -v[71:72]
	v_add_f64 v[71:72], v[83:84], v[71:72]
	v_add_f64 v[69:70], v[77:78], v[79:80]
	v_fma_f64 v[16:17], v[81:82], -0.5, v[16:17]
	v_add_f64 v[25:26], v[91:92], v[25:26]
	v_lshlrev_b32_sdwa v109, v48, v53 dst_sel:DWORD dst_unused:UNUSED_PAD src0_sel:DWORD src1_sel:BYTE_0
	s_barrier
	v_add_f64 v[73:74], v[97:98], v[73:74]
	v_add_f64 v[31:32], v[31:32], v[35:36]
	v_fma_f64 v[35:36], v[87:88], s[2:3], v[8:9]
	v_fma_f64 v[83:84], v[39:40], s[6:7], v[33:34]
	;; [unrolled: 1-line block ×4, first 2 shown]
	v_add_f64 v[77:78], v[85:86], v[37:38]
	v_fma_f64 v[37:38], v[99:100], s[2:3], v[0:1]
	v_fma_f64 v[85:86], v[101:102], s[6:7], v[10:11]
	;; [unrolled: 1-line block ×12, first 2 shown]
	v_add_f64 v[56:57], v[103:104], v[21:22]
	v_add_f64 v[81:82], v[95:96], v[23:24]
	v_fma_f64 v[95:96], v[58:59], s[6:7], v[14:15]
	v_fma_f64 v[58:59], v[58:59], s[2:3], v[14:15]
	;; [unrolled: 1-line block ×4, first 2 shown]
	buffer_gl0_inv
	ds_write2_b64 v111, v[75:76], v[35:36] offset1:5
	ds_write_b64 v111, v[8:9] offset:80
	ds_write2_b64 v41, v[89:90], v[37:38] offset1:5
	ds_write_b64 v41, v[0:1] offset:80
	;; [unrolled: 2-line block ×5, first 2 shown]
	s_waitcnt lgkmcnt(0)
	s_barrier
	buffer_gl0_inv
	ds_read_b64 v[16:17], v66
	ds_read2_b64 v[12:15], v65 offset0:135 offset1:162
	ds_read2_b64 v[8:11], v68 offset0:115 offset1:142
	;; [unrolled: 1-line block ×7, first 2 shown]
	s_waitcnt lgkmcnt(0)
	s_barrier
	buffer_gl0_inv
	ds_write2_b64 v111, v[73:74], v[83:84] offset1:5
	ds_write_b64 v111, v[39:40] offset:80
	ds_write2_b64 v41, v[31:32], v[85:86] offset1:5
	ds_write_b64 v41, v[87:88] offset:80
	ds_write2_b64 v108, v[77:78], v[91:92] offset1:5
	ds_write_b64 v108, v[93:94] offset:80
	ds_write2_b64 v110, v[56:57], v[95:96] offset1:5
	ds_write_b64 v110, v[58:59] offset:80
	ds_write2_b64 v112, v[81:82], v[97:98] offset1:5
	ds_write_b64 v112, v[18:19] offset:80
	s_waitcnt lgkmcnt(0)
	s_barrier
	buffer_gl0_inv
	global_load_dwordx4 v[30:33], v109, s[12:13] offset:176
	v_lshrrev_b16 v55, 11, v107
	v_mul_lo_u16 v19, 0x89, v50
	v_mov_b32_e32 v57, 0
	v_mul_lo_u16 v18, v55, 15
	v_lshrrev_b16 v69, 11, v19
	v_sub_nc_u16 v54, v43, v18
	v_mul_lo_u16 v19, v69, 15
	v_lshlrev_b32_sdwa v18, v48, v54 dst_sel:DWORD dst_unused:UNUSED_PAD src0_sel:DWORD src1_sel:BYTE_0
	v_sub_nc_u16 v59, v44, v19
	global_load_dwordx4 v[38:41], v18, s[12:13] offset:176
	v_lshlrev_b32_sdwa v19, v48, v59 dst_sel:DWORD dst_unused:UNUSED_PAD src0_sel:DWORD src1_sel:BYTE_0
	s_clause 0x1
	global_load_dwordx4 v[71:74], v18, s[12:13] offset:160
	global_load_dwordx4 v[75:78], v19, s[12:13] offset:160
	v_mul_lo_u16 v18, 0x89, v51
	s_clause 0x1
	global_load_dwordx4 v[79:82], v19, s[12:13] offset:176
	global_load_dwordx4 v[87:90], v109, s[12:13] offset:160
	v_add_nc_u32_e32 v19, -15, v64
	v_lshlrev_b32_sdwa v59, v49, v59 dst_sel:DWORD dst_unused:UNUSED_PAD src0_sel:DWORD src1_sel:BYTE_0
	v_lshrrev_b16 v70, 11, v18
	v_cndmask_b32_e64 v111, v19, v64, s0
	v_mul_lo_u16 v18, v70, 15
	v_lshlrev_b32_e32 v56, 1, v111
	v_sub_nc_u16 v58, v47, v18
	v_lshlrev_b32_sdwa v18, v48, v58 dst_sel:DWORD dst_unused:UNUSED_PAD src0_sel:DWORD src1_sel:BYTE_0
	v_lshlrev_b32_sdwa v115, v49, v58 dst_sel:DWORD dst_unused:UNUSED_PAD src0_sel:DWORD src1_sel:BYTE_0
	s_clause 0x1
	global_load_dwordx4 v[83:86], v18, s[12:13] offset:176
	global_load_dwordx4 v[91:94], v18, s[12:13] offset:160
	v_lshlrev_b64 v[18:19], 4, v[56:57]
	v_add_co_u32 v18, s0, s12, v18
	v_add_co_ci_u32_e64 v19, s0, s13, v19, s0
	s_clause 0x1
	global_load_dwordx4 v[95:98], v[18:19], off offset:160
	global_load_dwordx4 v[99:102], v[18:19], off offset:176
	ds_read2_b64 v[103:106], v67 offset0:41 offset1:68
	ds_read2_b64 v[107:110], v65 offset0:189 offset1:216
	v_cmp_lt_u32_e64 s0, 14, v64
	v_cndmask_b32_e64 v56, 0, 0x168, s0
	v_cmp_gt_u32_e64 s0, 18, v64
	v_add_nc_u32_e32 v56, 0, v56
	s_waitcnt vmcnt(9) lgkmcnt(1)
	v_mul_f64 v[18:19], v[103:104], v[32:33]
	v_mul_f64 v[24:25], v[20:21], v[32:33]
	s_waitcnt vmcnt(8)
	v_mul_f64 v[32:33], v[105:106], v[40:41]
	v_fma_f64 v[20:21], v[20:21], v[30:31], -v[18:19]
	v_fma_f64 v[18:19], v[103:104], v[30:31], v[24:25]
	v_mul_f64 v[30:31], v[22:23], v[40:41]
	s_waitcnt vmcnt(7)
	v_mul_f64 v[40:41], v[26:27], v[73:74]
	v_fma_f64 v[24:25], v[22:23], v[38:39], -v[32:33]
	s_waitcnt lgkmcnt(0)
	v_mul_f64 v[32:33], v[107:108], v[73:74]
	s_waitcnt vmcnt(6)
	v_mul_f64 v[73:74], v[109:110], v[77:78]
	v_fma_f64 v[22:23], v[105:106], v[38:39], v[30:31]
	ds_read2_b64 v[103:106], v67 offset0:95 offset1:122
	v_mul_f64 v[77:78], v[28:29], v[77:78]
	v_fma_f64 v[38:39], v[107:108], v[71:72], v[40:41]
	v_fma_f64 v[30:31], v[26:27], v[71:72], -v[32:33]
	s_waitcnt vmcnt(5) lgkmcnt(0)
	v_mul_f64 v[26:27], v[103:104], v[81:82]
	v_mul_f64 v[81:82], v[34:35], v[81:82]
	v_fma_f64 v[32:33], v[28:29], v[75:76], -v[73:74]
	ds_read2_b64 v[71:74], v65 offset0:135 offset1:162
	v_fma_f64 v[40:41], v[109:110], v[75:76], v[77:78]
	ds_read2_b64 v[75:78], v68 offset0:115 offset1:142
	s_waitcnt vmcnt(3)
	v_mul_f64 v[28:29], v[105:106], v[85:86]
	v_mul_f64 v[85:86], v[36:37], v[85:86]
	v_fma_f64 v[34:35], v[34:35], v[79:80], -v[26:27]
	v_fma_f64 v[26:27], v[103:104], v[79:80], v[81:82]
	s_waitcnt lgkmcnt(1)
	v_mul_f64 v[79:80], v[73:74], v[89:90]
	v_mul_f64 v[81:82], v[14:15], v[89:90]
	s_waitcnt vmcnt(2) lgkmcnt(0)
	v_mul_f64 v[89:90], v[75:76], v[93:94]
	v_mul_f64 v[93:94], v[8:9], v[93:94]
	v_fma_f64 v[36:37], v[36:37], v[83:84], -v[28:29]
	v_fma_f64 v[28:29], v[105:106], v[83:84], v[85:86]
	s_waitcnt vmcnt(1)
	v_mul_f64 v[84:85], v[71:72], v[97:98]
	v_mul_f64 v[97:98], v[12:13], v[97:98]
	v_subrev_nc_u32_e32 v83, 18, v64
	v_lshlrev_b32_sdwa v104, v49, v53 dst_sel:DWORD dst_unused:UNUSED_PAD src0_sel:DWORD src1_sel:BYTE_0
	v_lshlrev_b32_sdwa v105, v49, v54 dst_sel:DWORD dst_unused:UNUSED_PAD src0_sel:DWORD src1_sel:BYTE_0
	v_add_f64 v[106:107], v[6:7], v[30:31]
	v_cndmask_b32_e64 v110, v83, v42, s0
	v_mov_b32_e32 v83, v57
	v_fma_f64 v[79:80], v[14:15], v[87:88], -v[79:80]
	v_fma_f64 v[73:74], v[73:74], v[87:88], v[81:82]
	s_waitcnt vmcnt(0)
	v_mul_f64 v[86:87], v[77:78], v[101:102]
	v_mul_f64 v[101:102], v[10:11], v[101:102]
	v_fma_f64 v[8:9], v[8:9], v[91:92], -v[89:90]
	v_fma_f64 v[75:76], v[75:76], v[91:92], v[93:94]
	v_lshlrev_b32_e32 v82, 1, v110
	v_lshlrev_b32_e32 v14, 3, v111
	v_and_b32_e32 v15, 0xffff, v52
	v_and_b32_e32 v52, 0xffff, v55
	;; [unrolled: 1-line block ×3, first 2 shown]
	v_lshlrev_b64 v[81:82], 4, v[82:83]
	v_fma_f64 v[83:84], v[12:13], v[95:96], -v[84:85]
	v_fma_f64 v[71:72], v[71:72], v[95:96], v[97:98]
	v_add_f64 v[90:91], v[30:31], v[24:25]
	v_add_f64 v[92:93], v[38:39], v[22:23]
	;; [unrolled: 1-line block ×3, first 2 shown]
	v_add3_u32 v111, v56, v14, v46
	v_mad_u32_u24 v56, 0x168, v15, 0
	v_mad_u32_u24 v69, 0x168, v52, 0
	;; [unrolled: 1-line block ×3, first 2 shown]
	ds_read2_b64 v[52:55], v65 offset0:27 offset1:54
	v_add_f64 v[88:89], v[79:80], v[20:21]
	ds_read2_b64 v[12:15], v65 offset0:81 offset1:108
	v_fma_f64 v[10:11], v[10:11], v[99:100], -v[86:87]
	v_add_f64 v[85:86], v[73:74], v[18:19]
	v_fma_f64 v[77:78], v[77:78], v[99:100], v[101:102]
	v_add_f64 v[96:97], v[8:9], v[36:37]
	v_add_f64 v[98:99], v[40:41], v[26:27]
	v_add_f64 v[100:101], v[75:76], v[28:29]
	v_add3_u32 v112, v56, v104, v46
	v_add3_u32 v113, v69, v105, v46
	v_add_f64 v[104:105], v[4:5], v[79:80]
	v_add3_u32 v114, v103, v59, v46
	ds_read_b64 v[102:103], v66
	v_and_b32_e32 v59, 0xffff, v70
	v_fma_f64 v[6:7], v[90:91], -0.5, v[6:7]
	v_add_f64 v[79:80], v[79:80], -v[20:21]
	v_add_f64 v[30:31], v[30:31], -v[24:25]
	v_add_f64 v[24:25], v[106:107], v[24:25]
	v_lshlrev_b32_e32 v56, 1, v64
	s_waitcnt lgkmcnt(2)
	v_add_f64 v[108:109], v[52:53], v[73:74]
	v_add_co_u32 v81, s0, s12, v81
	v_fma_f64 v[4:5], v[88:89], -0.5, v[4:5]
	v_add_f64 v[87:88], v[54:55], v[38:39]
	v_add_f64 v[89:90], v[83:84], v[10:11]
	v_fma_f64 v[52:53], v[85:86], -0.5, v[52:53]
	v_fma_f64 v[54:55], v[92:93], -0.5, v[54:55]
	v_add_f64 v[85:86], v[0:1], v[32:33]
	v_fma_f64 v[0:1], v[94:95], -0.5, v[0:1]
	v_fma_f64 v[93:94], v[96:97], -0.5, v[2:3]
	s_waitcnt lgkmcnt(1)
	v_add_f64 v[95:96], v[12:13], v[40:41]
	v_fma_f64 v[12:13], v[98:99], -0.5, v[12:13]
	v_fma_f64 v[97:98], v[100:101], -0.5, v[14:15]
	v_add_f64 v[99:100], v[71:72], v[77:78]
	v_add_f64 v[91:92], v[16:17], v[83:84]
	;; [unrolled: 1-line block ×3, first 2 shown]
	v_add_f64 v[69:70], v[83:84], -v[10:11]
	s_waitcnt lgkmcnt(0)
	v_add_f64 v[83:84], v[102:103], v[71:72]
	v_mad_u32_u24 v101, 0x168, v59, 0
	v_add_f64 v[58:59], v[71:72], -v[77:78]
	v_add_f64 v[71:72], v[73:74], -v[18:19]
	;; [unrolled: 1-line block ×3, first 2 shown]
	v_add_f64 v[14:15], v[14:15], v[75:76]
	v_add_f64 v[40:41], v[40:41], -v[26:27]
	v_add_f64 v[75:76], v[75:76], -v[28:29]
	;; [unrolled: 1-line block ×3, first 2 shown]
	v_fma_f64 v[16:17], v[89:90], -0.5, v[16:17]
	v_add_f64 v[8:9], v[8:9], -v[36:37]
	v_add_f64 v[20:21], v[104:105], v[20:21]
	v_add_f64 v[34:35], v[85:86], v[34:35]
	v_lshlrev_b64 v[89:90], 4, v[56:57]
	v_add_nc_u32_e32 v56, 18, v56
	s_barrier
	buffer_gl0_inv
	v_fma_f64 v[73:74], v[99:100], -0.5, v[102:103]
	v_add_f64 v[10:11], v[91:92], v[10:11]
	v_add_f64 v[2:3], v[2:3], v[36:37]
	v_add_f64 v[36:37], v[108:109], v[18:19]
	v_add_f64 v[77:78], v[83:84], v[77:78]
	v_add_f64 v[83:84], v[87:88], v[22:23]
	v_lshlrev_b64 v[91:92], 4, v[56:57]
	v_fma_f64 v[22:23], v[71:72], s[2:3], v[4:5]
	v_fma_f64 v[4:5], v[71:72], s[6:7], v[4:5]
	v_add_f64 v[28:29], v[14:15], v[28:29]
	v_add3_u32 v56, v101, v115, v46
	v_fma_f64 v[71:72], v[75:76], s[6:7], v[93:94]
	v_add_co_ci_u32_e64 v82, s0, s13, v82, s0
	v_fma_f64 v[18:19], v[58:59], s[2:3], v[16:17]
	v_fma_f64 v[16:17], v[58:59], s[6:7], v[16:17]
	;; [unrolled: 1-line block ×7, first 2 shown]
	v_add_f64 v[75:76], v[95:96], v[26:27]
	v_fma_f64 v[85:86], v[69:70], s[6:7], v[73:74]
	v_fma_f64 v[69:70], v[69:70], s[2:3], v[73:74]
	;; [unrolled: 1-line block ×10, first 2 shown]
	ds_write2_b64 v111, v[10:11], v[18:19] offset1:15
	ds_write_b64 v111, v[16:17] offset:240
	ds_write2_b64 v112, v[20:21], v[22:23] offset1:15
	ds_write_b64 v112, v[4:5] offset:240
	;; [unrolled: 2-line block ×5, first 2 shown]
	s_waitcnt lgkmcnt(0)
	s_barrier
	buffer_gl0_inv
	ds_read_b64 v[58:59], v66
	ds_read2_b64 v[0:3], v65 offset0:135 offset1:162
	ds_read2_b64 v[4:7], v68 offset0:115 offset1:142
	;; [unrolled: 1-line block ×7, first 2 shown]
	s_waitcnt lgkmcnt(0)
	s_barrier
	buffer_gl0_inv
	ds_write2_b64 v111, v[77:78], v[85:86] offset1:15
	ds_write_b64 v111, v[69:70] offset:240
	ds_write2_b64 v112, v[36:37], v[73:74] offset1:15
	ds_write_b64 v112, v[52:53] offset:240
	;; [unrolled: 2-line block ×5, first 2 shown]
	v_mul_lo_u16 v28, 0x6d, v51
	v_add_co_u32 v54, s0, s12, v91
	v_mul_lo_u16 v29, 0x6d, v50
	v_add_co_ci_u32_e64 v55, s0, s13, v92, s0
	v_lshrrev_b16 v38, 8, v28
	s_waitcnt lgkmcnt(0)
	v_lshrrev_b16 v50, 8, v29
	s_barrier
	buffer_gl0_inv
	s_clause 0x1
	global_load_dwordx4 v[30:33], v[81:82], off offset:656
	global_load_dwordx4 v[34:37], v[54:55], off offset:656
	v_sub_nc_u16 v28, v47, v38
	v_sub_nc_u16 v29, v44, v50
	v_lshrrev_b16 v28, 1, v28
	v_lshrrev_b16 v39, 1, v29
	v_and_b32_e32 v40, 0x7f, v28
	v_add_co_u32 v28, s0, s12, v89
	v_and_b32_e32 v51, 0x7f, v39
	v_add_co_ci_u32_e64 v29, s0, s13, v90, s0
	v_add_nc_u16 v56, v40, v38
	v_cmp_lt_u32_e64 s0, 17, v64
	v_add_nc_u16 v69, v51, v50
	s_clause 0x1
	global_load_dwordx4 v[50:53], v[81:82], off offset:640
	global_load_dwordx4 v[38:41], v[28:29], off offset:640
	v_lshrrev_b16 v56, 5, v56
	v_lshrrev_b16 v107, 5, v69
	global_load_dwordx4 v[69:72], v[54:55], off offset:640
	v_mul_lo_u16 v56, v56, 45
	v_mul_lo_u16 v54, v107, 45
	v_sub_nc_u16 v55, v47, v56
	v_sub_nc_u16 v56, v44, v54
	v_and_b32_e32 v108, 0xff, v55
	v_lshlrev_b32_sdwa v48, v48, v56 dst_sel:DWORD dst_unused:UNUSED_PAD src0_sel:DWORD src1_sel:BYTE_0
	v_lshlrev_b32_e32 v54, 5, v108
	s_clause 0x4
	global_load_dwordx4 v[73:76], v48, s[12:13] offset:640
	global_load_dwordx4 v[77:80], v[28:29], off offset:656
	global_load_dwordx4 v[81:84], v54, s[12:13] offset:640
	global_load_dwordx4 v[85:88], v48, s[12:13] offset:656
	;; [unrolled: 1-line block ×3, first 2 shown]
	ds_read2_b64 v[93:96], v67 offset0:41 offset1:68
	ds_read2_b64 v[97:100], v65 offset0:135 offset1:162
	s_waitcnt vmcnt(9) lgkmcnt(1)
	v_mul_f64 v[54:55], v[93:94], v[32:33]
	v_mul_f64 v[32:33], v[12:13], v[32:33]
	s_waitcnt vmcnt(8)
	v_mul_f64 v[101:102], v[95:96], v[36:37]
	v_mul_f64 v[36:37], v[14:15], v[36:37]
	s_waitcnt vmcnt(7) lgkmcnt(0)
	v_mul_f64 v[105:106], v[99:100], v[52:53]
	s_waitcnt vmcnt(6)
	v_mul_f64 v[103:104], v[97:98], v[40:41]
	v_mul_f64 v[52:53], v[2:3], v[52:53]
	v_fma_f64 v[54:55], v[12:13], v[30:31], -v[54:55]
	v_fma_f64 v[93:94], v[93:94], v[30:31], v[32:33]
	ds_read2_b64 v[30:33], v65 offset0:189 offset1:216
	v_fma_f64 v[101:102], v[14:15], v[34:35], -v[101:102]
	ds_read2_b64 v[12:15], v68 offset0:115 offset1:142
	v_fma_f64 v[34:35], v[95:96], v[34:35], v[36:37]
	v_mul_f64 v[40:41], v[0:1], v[40:41]
	v_fma_f64 v[95:96], v[0:1], v[38:39], -v[103:104]
	v_fma_f64 v[103:104], v[2:3], v[50:51], -v[105:106]
	s_waitcnt vmcnt(5) lgkmcnt(1)
	v_mul_f64 v[36:37], v[30:31], v[71:72]
	v_mul_f64 v[71:72], v[16:17], v[71:72]
	s_waitcnt vmcnt(4)
	v_mul_f64 v[105:106], v[32:33], v[75:76]
	v_fma_f64 v[50:51], v[99:100], v[50:51], v[52:53]
	s_waitcnt vmcnt(2) lgkmcnt(0)
	v_mul_f64 v[99:100], v[12:13], v[83:84]
	ds_read2_b64 v[0:3], v67 offset0:95 offset1:122
	v_mul_f64 v[52:53], v[14:15], v[79:80]
	v_fma_f64 v[38:39], v[97:98], v[38:39], v[40:41]
	v_fma_f64 v[16:17], v[16:17], v[69:70], -v[36:37]
	v_fma_f64 v[30:31], v[30:31], v[69:70], v[71:72]
	v_fma_f64 v[36:37], v[18:19], v[73:74], -v[105:106]
	v_mul_f64 v[18:19], v[18:19], v[75:76]
	v_fma_f64 v[71:72], v[4:5], v[81:82], -v[99:100]
	v_mul_f64 v[75:76], v[4:5], v[83:84]
	s_waitcnt vmcnt(1) lgkmcnt(0)
	v_mul_f64 v[4:5], v[0:1], v[87:88]
	v_mul_f64 v[69:70], v[6:7], v[79:80]
	v_fma_f64 v[52:53], v[6:7], v[77:78], -v[52:53]
	v_add_f64 v[40:41], v[16:17], v[101:102]
	v_fma_f64 v[18:19], v[32:33], v[73:74], v[18:19]
	v_add_f64 v[32:33], v[103:104], v[54:55]
	v_fma_f64 v[12:13], v[12:13], v[81:82], v[75:76]
	v_fma_f64 v[79:80], v[24:25], v[85:86], -v[4:5]
	s_waitcnt vmcnt(0)
	v_mul_f64 v[4:5], v[2:3], v[91:92]
	v_mul_f64 v[24:25], v[24:25], v[87:88]
	v_fma_f64 v[14:15], v[14:15], v[77:78], v[69:70]
	v_add_f64 v[73:74], v[95:96], v[52:53]
	v_add_f64 v[75:76], v[50:51], v[93:94]
	v_add_f64 v[77:78], v[30:31], v[34:35]
	v_add_f64 v[81:82], v[8:9], v[103:104]
	v_add_f64 v[97:98], v[22:23], v[71:72]
	v_add_f64 v[103:104], v[103:104], -v[54:55]
	v_fma_f64 v[8:9], v[32:33], -0.5, v[8:9]
	v_fma_f64 v[83:84], v[26:27], v[89:90], -v[4:5]
	v_mul_f64 v[26:27], v[26:27], v[91:92]
	v_cndmask_b32_e64 v4, 0, 0x438, s0
	v_lshlrev_b32_e32 v5, 3, v110
	v_fma_f64 v[24:25], v[0:1], v[85:86], v[24:25]
	v_add_f64 v[85:86], v[10:11], v[16:17]
	v_add_f64 v[91:92], v[20:21], v[36:37]
	v_add_nc_u32_e32 v4, 0, v4
	v_add_f64 v[105:106], v[38:39], v[14:15]
	v_fma_f64 v[10:11], v[40:41], -0.5, v[10:11]
	v_add_f64 v[40:41], v[58:59], v[95:96]
	v_fma_f64 v[58:59], v[73:74], -0.5, v[58:59]
	v_add3_u32 v109, v4, v5, v46
	v_and_b32_e32 v5, 0xffff, v107
	v_lshlrev_b32_sdwa v4, v49, v56 dst_sel:DWORD dst_unused:UNUSED_PAD src0_sel:DWORD src1_sel:BYTE_0
	v_lshl_add_u32 v107, v108, 3, v45
	v_add_f64 v[16:17], v[16:17], -v[101:102]
	v_add_f64 v[95:96], v[95:96], -v[52:53]
	v_mad_u32_u24 v5, 0x438, v5, 0
	v_add_nc_u32_e32 v108, 0x800, v107
	v_add_f64 v[48:49], v[71:72], v[83:84]
	v_add3_u32 v56, v5, v4, v46
	v_fma_f64 v[26:27], v[2:3], v[89:90], v[26:27]
	v_add_f64 v[45:46], v[36:37], v[79:80]
	ds_read2_b64 v[4:7], v65 offset0:27 offset1:54
	ds_read2_b64 v[0:3], v65 offset0:81 offset1:108
	ds_read_b64 v[69:70], v66
	v_add_f64 v[99:100], v[18:19], v[24:25]
	v_add_f64 v[36:37], v[36:37], -v[79:80]
	v_add_f64 v[71:72], v[71:72], -v[83:84]
	s_waitcnt lgkmcnt(0)
	s_barrier
	buffer_gl0_inv
	v_fma_f64 v[22:23], v[48:49], -0.5, v[22:23]
	v_add_f64 v[32:33], v[12:13], v[26:27]
	v_fma_f64 v[20:21], v[45:46], -0.5, v[20:21]
	v_add_f64 v[45:46], v[69:70], v[38:39]
	v_add_f64 v[38:39], v[38:39], -v[14:15]
	v_add_f64 v[87:88], v[4:5], v[50:51]
	v_add_f64 v[50:51], v[50:51], -v[93:94]
	;; [unrolled: 2-line block ×5, first 2 shown]
	v_fma_f64 v[4:5], v[75:76], -0.5, v[4:5]
	v_fma_f64 v[6:7], v[77:78], -0.5, v[6:7]
	;; [unrolled: 1-line block ×5, first 2 shown]
	v_add_f64 v[32:33], v[40:41], v[52:53]
	v_add_f64 v[40:41], v[81:82], v[54:55]
	v_fma_f64 v[77:78], v[38:39], s[2:3], v[58:59]
	v_fma_f64 v[38:39], v[38:39], s[6:7], v[58:59]
	;; [unrolled: 1-line block ×4, first 2 shown]
	v_add_f64 v[52:53], v[85:86], v[101:102]
	v_fma_f64 v[50:51], v[30:31], s[2:3], v[10:11]
	v_fma_f64 v[10:11], v[30:31], s[6:7], v[10:11]
	v_add_f64 v[45:46], v[45:46], v[14:15]
	v_add_f64 v[14:15], v[91:92], v[79:80]
	v_fma_f64 v[30:31], v[18:19], s[2:3], v[20:21]
	v_fma_f64 v[18:19], v[18:19], s[6:7], v[20:21]
	v_add_f64 v[54:55], v[97:98], v[83:84]
	v_fma_f64 v[20:21], v[12:13], s[2:3], v[22:23]
	v_fma_f64 v[12:13], v[12:13], s[6:7], v[22:23]
	v_add_f64 v[75:76], v[87:88], v[93:94]
	v_add_f64 v[34:35], v[89:90], v[34:35]
	;; [unrolled: 1-line block ×4, first 2 shown]
	v_fma_f64 v[81:82], v[103:104], s[6:7], v[4:5]
	v_fma_f64 v[83:84], v[103:104], s[2:3], v[4:5]
	;; [unrolled: 1-line block ×8, first 2 shown]
	ds_write2_b64 v65, v[32:33], v[77:78] offset1:45
	ds_write_b64 v65, v[38:39] offset:720
	ds_write2_b64 v109, v[40:41], v[58:59] offset1:45
	ds_write_b64 v109, v[8:9] offset:720
	ds_write2_b64 v65, v[52:53], v[50:51] offset0:144 offset1:189
	ds_write_b64 v65, v[10:11] offset:1872
	ds_write2_b64 v56, v[14:15], v[30:31] offset1:45
	ds_write_b64 v56, v[18:19] offset:720
	ds_write2_b64 v108, v[54:55], v[20:21] offset0:14 offset1:59
	ds_write_b64 v107, v[12:13] offset:2880
	s_waitcnt lgkmcnt(0)
	s_barrier
	buffer_gl0_inv
	ds_read_b64 v[58:59], v66
	ds_read2_b64 v[8:11], v65 offset0:135 offset1:162
	ds_read2_b64 v[24:27], v68 offset0:115 offset1:142
	;; [unrolled: 1-line block ×7, first 2 shown]
	v_fma_f64 v[79:80], v[95:96], s[6:7], v[69:70]
	v_fma_f64 v[69:70], v[95:96], s[2:3], v[69:70]
	s_waitcnt lgkmcnt(0)
	s_barrier
	buffer_gl0_inv
	ds_write2_b64 v65, v[45:46], v[79:80] offset1:45
	ds_write_b64 v65, v[69:70] offset:720
	ds_write2_b64 v109, v[75:76], v[81:82] offset1:45
	ds_write_b64 v109, v[83:84] offset:720
	ds_write2_b64 v65, v[34:35], v[85:86] offset0:144 offset1:189
	ds_write_b64 v65, v[87:88] offset:1872
	ds_write2_b64 v56, v[48:49], v[89:90] offset1:45
	ds_write_b64 v56, v[36:37] offset:720
	ds_write2_b64 v108, v[73:74], v[91:92] offset0:14 offset1:59
	ds_write_b64 v107, v[71:72] offset:2880
	s_waitcnt lgkmcnt(0)
	s_barrier
	buffer_gl0_inv
	s_and_saveexec_b32 s0, vcc_lo
	s_cbranch_execz .LBB0_15
; %bb.14:
	v_lshlrev_b32_e32 v56, 1, v47
	v_mad_u64_u32 v[101:102], null, s4, v62, 0
	v_add_nc_u32_e32 v109, 0x51, v64
	v_add_nc_u32_e32 v110, 0x6c, v64
	v_lshlrev_b64 v[30:31], 4, v[56:57]
	v_lshlrev_b32_e32 v56, 1, v44
	v_add_nc_u32_e32 v107, 27, v64
	v_mul_hi_u32 v114, 0xf2b9d649, v109
	v_add_nc_u32_e32 v108, 54, v64
	v_mul_hi_u32 v111, 0xf2b9d649, v64
	v_add_co_u32 v34, vcc_lo, s12, v30
	v_add_co_ci_u32_e32 v35, vcc_lo, s13, v31, vcc_lo
	v_add_co_u32 v30, vcc_lo, 0x820, v28
	v_add_co_ci_u32_e32 v31, vcc_lo, 0, v29, vcc_lo
	;; [unrolled: 2-line block ×3, first 2 shown]
	s_clause 0x1
	global_load_dwordx4 v[69:72], v[30:31], off offset:16
	global_load_dwordx4 v[73:76], v[32:33], off offset:32
	v_lshlrev_b64 v[30:31], 4, v[56:57]
	v_add_co_u32 v32, vcc_lo, 0x820, v34
	v_add_co_ci_u32_e32 v33, vcc_lo, 0, v35, vcc_lo
	v_lshlrev_b32_e32 v56, 1, v43
	v_add_co_u32 v34, vcc_lo, s12, v30
	v_add_co_ci_u32_e32 v35, vcc_lo, s13, v31, vcc_lo
	global_load_dwordx4 v[77:80], v[32:33], off offset:16
	v_add_co_u32 v30, vcc_lo, 0x820, v34
	v_add_co_ci_u32_e32 v31, vcc_lo, 0, v35, vcc_lo
	v_lshrrev_b32_e32 v114, 7, v114
	v_mul_hi_u32 v112, 0xf2b9d649, v107
	v_lshlrev_b64 v[103:104], 4, v[60:61]
	global_load_dwordx4 v[81:84], v[30:31], off offset:16
	v_lshlrev_b64 v[32:33], 4, v[56:57]
	v_add_co_u32 v30, vcc_lo, 0x800, v34
	v_add_co_ci_u32_e32 v31, vcc_lo, 0, v35, vcc_lo
	v_lshlrev_b32_e32 v56, 1, v42
	v_add_co_u32 v34, vcc_lo, s12, v32
	v_add_co_ci_u32_e32 v35, vcc_lo, s13, v33, vcc_lo
	global_load_dwordx4 v[48:51], v[30:31], off offset:32
	v_add_co_u32 v30, vcc_lo, 0x800, v34
	v_add_co_ci_u32_e32 v31, vcc_lo, 0, v35, vcc_lo
	v_add_co_u32 v28, vcc_lo, 0x800, v28
	v_add_co_ci_u32_e32 v29, vcc_lo, 0, v29, vcc_lo
	v_lshlrev_b64 v[32:33], 4, v[56:57]
	s_clause 0x1
	global_load_dwordx4 v[52:55], v[30:31], off offset:32
	global_load_dwordx4 v[44:47], v[28:29], off offset:32
	v_mul_lo_u32 v56, s5, v62
	v_mul_hi_u32 v113, 0xf2b9d649, v108
	v_mul_lo_u32 v117, 0x87, v114
	v_add_co_u32 v36, vcc_lo, s12, v32
	v_add_co_ci_u32_e32 v37, vcc_lo, s13, v33, vcc_lo
	v_add_co_u32 v28, vcc_lo, 0x820, v34
	v_add_co_ci_u32_e32 v29, vcc_lo, 0, v35, vcc_lo
	;; [unrolled: 2-line block ×3, first 2 shown]
	global_load_dwordx4 v[32:35], v[28:29], off offset:16
	v_add_co_u32 v28, vcc_lo, 0x820, v36
	v_add_co_ci_u32_e32 v29, vcc_lo, 0, v37, vcc_lo
	s_clause 0x1
	global_load_dwordx4 v[36:39], v[30:31], off offset:32
	global_load_dwordx4 v[40:43], v[28:29], off offset:16
	ds_read2_b64 v[85:88], v68 offset0:115 offset1:142
	ds_read2_b64 v[89:92], v65 offset0:189 offset1:216
	v_mul_lo_u32 v68, s4, v63
	v_lshrrev_b32_e32 v111, 7, v111
	v_lshrrev_b32_e32 v112, 7, v112
	ds_read2_b64 v[93:96], v67 offset0:95 offset1:122
	ds_read2_b64 v[28:31], v65 offset0:81 offset1:108
	ds_read2_b64 v[97:100], v65 offset0:135 offset1:162
	ds_read2_b64 v[60:63], v67 offset0:41 offset1:68
	v_lshrrev_b32_e32 v113, 7, v113
	v_add3_u32 v102, v102, v68, v56
	v_mul_hi_u32 v56, 0xf2b9d649, v110
	ds_read_b64 v[105:106], v66
	ds_read2_b64 v[65:68], v65 offset0:27 offset1:54
	v_mul_lo_u32 v116, 0x87, v113
	v_lshlrev_b64 v[101:102], 4, v[101:102]
	v_lshrrev_b32_e32 v115, 7, v56
	v_mul_lo_u32 v56, 0x87, v111
	v_add_co_u32 v101, vcc_lo, s10, v101
	v_add_co_ci_u32_e32 v102, vcc_lo, s11, v102, vcc_lo
	v_mul_lo_u32 v118, 0x87, v115
	v_add_co_u32 v129, vcc_lo, v101, v103
	v_add_co_ci_u32_e32 v130, vcc_lo, v102, v104, vcc_lo
	v_sub_nc_u32_e32 v101, v109, v117
	v_mul_lo_u32 v111, 0x87, v112
	v_sub_nc_u32_e32 v119, v64, v56
	v_sub_nc_u32_e32 v102, v110, v118
	;; [unrolled: 1-line block ×3, first 2 shown]
	v_lshlrev_b32_e32 v116, 4, v119
	v_sub_nc_u32_e32 v56, v107, v111
	v_mad_u64_u32 v[107:108], null, 0x195, v112, v[56:57]
	s_waitcnt lgkmcnt(0)
	v_mad_u64_u32 v[111:112], null, 0x195, v113, v[64:65]
	v_mov_b32_e32 v108, v57
	v_mad_u64_u32 v[113:114], null, 0x195, v114, v[101:102]
	v_mov_b32_e32 v112, v57
	v_mov_b32_e32 v114, v57
	v_lshlrev_b64 v[117:118], 4, v[107:108]
	v_add_nc_u32_e32 v56, 0x87, v107
	s_waitcnt vmcnt(9)
	v_mul_f64 v[103:104], v[87:88], v[71:72]
	s_waitcnt vmcnt(8)
	v_mul_f64 v[109:110], v[85:86], v[75:76]
	v_mul_f64 v[75:76], v[24:25], v[75:76]
	;; [unrolled: 1-line block ×3, first 2 shown]
	s_waitcnt vmcnt(7)
	v_mul_f64 v[119:120], v[95:96], v[79:80]
	v_mad_u64_u32 v[101:102], null, 0x195, v115, v[102:103]
	v_fma_f64 v[24:25], v[24:25], v[73:74], -v[109:110]
	v_fma_f64 v[73:74], v[73:74], v[85:86], v[75:76]
	v_mul_f64 v[75:76], v[22:23], v[79:80]
	s_waitcnt vmcnt(6)
	v_mul_f64 v[85:86], v[20:21], v[83:84]
	v_add_co_u32 v115, vcc_lo, v129, v116
	v_fma_f64 v[26:27], v[26:27], v[69:70], -v[103:104]
	v_fma_f64 v[69:70], v[69:70], v[87:88], v[71:72]
	v_lshlrev_b64 v[71:72], 4, v[111:112]
	v_mov_b32_e32 v102, v57
	v_add_co_ci_u32_e32 v116, vcc_lo, 0, v130, vcc_lo
	v_lshlrev_b64 v[87:88], 4, v[113:114]
	v_add_co_u32 v79, vcc_lo, v129, v117
	v_add_co_ci_u32_e32 v80, vcc_lo, v130, v118, vcc_lo
	v_lshlrev_b64 v[102:103], 4, v[101:102]
	v_add_co_u32 v71, vcc_lo, v129, v71
	v_add_co_ci_u32_e32 v72, vcc_lo, v130, v72, vcc_lo
	v_add_co_u32 v87, vcc_lo, v129, v87
	v_add_co_ci_u32_e32 v88, vcc_lo, v130, v88, vcc_lo
	v_lshlrev_b64 v[108:109], 4, v[56:57]
	v_add_co_u32 v102, vcc_lo, v129, v102
	v_add_co_ci_u32_e32 v103, vcc_lo, v130, v103, vcc_lo
	v_mul_f64 v[83:84], v[93:94], v[83:84]
	v_add_co_u32 v117, vcc_lo, 0x800, v115
	v_add_co_ci_u32_e32 v118, vcc_lo, 0, v116, vcc_lo
	v_fma_f64 v[75:76], v[77:78], v[95:96], v[75:76]
	s_waitcnt vmcnt(5)
	v_mul_f64 v[95:96], v[91:92], v[50:51]
	v_fma_f64 v[85:86], v[81:82], v[93:94], v[85:86]
	v_mul_f64 v[50:51], v[18:19], v[50:51]
	v_add_co_u32 v93, vcc_lo, v129, v108
	v_add_co_ci_u32_e32 v94, vcc_lo, v130, v109, vcc_lo
	s_waitcnt vmcnt(4)
	v_mul_f64 v[109:110], v[89:90], v[54:55]
	v_mul_f64 v[54:55], v[16:17], v[54:55]
	v_add_nc_u32_e32 v56, 0x10e, v107
	v_fma_f64 v[22:23], v[22:23], v[77:78], -v[119:120]
	v_lshlrev_b64 v[77:78], 4, v[56:57]
	v_add_nc_u32_e32 v56, 0x87, v111
	v_fma_f64 v[20:21], v[20:21], v[81:82], -v[83:84]
	s_waitcnt vmcnt(3)
	v_mul_f64 v[81:82], v[97:98], v[46:47]
	v_mul_f64 v[46:47], v[8:9], v[46:47]
	v_lshlrev_b64 v[107:108], 4, v[56:57]
	v_add_co_u32 v77, vcc_lo, v129, v77
	v_add_co_ci_u32_e32 v78, vcc_lo, v130, v78, vcc_lo
	v_add_co_u32 v83, vcc_lo, 0x1000, v115
	v_add_co_ci_u32_e32 v84, vcc_lo, 0, v116, vcc_lo
	v_fma_f64 v[18:19], v[18:19], v[48:49], -v[95:96]
	v_fma_f64 v[48:49], v[48:49], v[91:92], v[50:51]
	v_add_co_u32 v91, vcc_lo, v129, v107
	v_add_co_ci_u32_e32 v92, vcc_lo, v130, v108, vcc_lo
	s_waitcnt vmcnt(2)
	v_mul_f64 v[95:96], v[62:63], v[34:35]
	v_fma_f64 v[16:17], v[16:17], v[52:53], -v[109:110]
	v_mul_f64 v[34:35], v[14:15], v[34:35]
	s_waitcnt vmcnt(1)
	v_mul_f64 v[107:108], v[10:11], v[38:39]
	v_fma_f64 v[52:53], v[52:53], v[89:90], v[54:55]
	s_waitcnt vmcnt(0)
	v_mul_f64 v[54:55], v[12:13], v[42:43]
	v_mul_f64 v[38:39], v[99:100], v[38:39]
	;; [unrolled: 1-line block ×3, first 2 shown]
	v_add_nc_u32_e32 v56, 0x10e, v111
	v_fma_f64 v[8:9], v[8:9], v[44:45], -v[81:82]
	v_fma_f64 v[44:45], v[44:45], v[97:98], v[46:47]
	v_lshlrev_b64 v[50:51], 4, v[56:57]
	v_add_nc_u32_e32 v56, 0x87, v113
	v_add_f64 v[123:124], v[18:19], v[20:21]
	v_add_f64 v[121:122], v[18:19], -v[20:21]
	v_add_f64 v[18:19], v[4:5], v[18:19]
	v_add_co_u32 v81, vcc_lo, v129, v50
	v_add_co_ci_u32_e32 v82, vcc_lo, v130, v51, vcc_lo
	v_fma_f64 v[50:51], v[14:15], v[32:33], -v[95:96]
	v_fma_f64 v[32:33], v[32:33], v[62:63], v[34:35]
	v_fma_f64 v[14:15], v[36:37], v[99:100], v[107:108]
	v_lshlrev_b64 v[89:90], 4, v[56:57]
	v_fma_f64 v[34:35], v[40:41], v[60:61], v[54:55]
	v_fma_f64 v[36:37], v[10:11], v[36:37], -v[38:39]
	v_fma_f64 v[38:39], v[12:13], v[40:41], -v[42:43]
	v_add_nc_u32_e32 v56, 0x10e, v113
	v_add_f64 v[12:13], v[58:59], v[8:9]
	v_add_f64 v[40:41], v[44:45], v[69:70]
	v_add_f64 v[42:43], v[8:9], v[26:27]
	v_add_f64 v[10:11], v[44:45], v[105:106]
	v_lshlrev_b64 v[46:47], 4, v[56:57]
	v_add_nc_u32_e32 v56, 0x87, v101
	v_add_f64 v[107:108], v[48:49], v[85:86]
	v_add_f64 v[113:114], v[48:49], v[28:29]
	v_add_f64 v[54:55], v[6:7], v[24:25]
	v_add_f64 v[95:96], v[73:74], v[75:76]
	v_lshlrev_b64 v[97:98], 4, v[56:57]
	v_add_nc_u32_e32 v56, 0x10e, v101
	v_add_f64 v[99:100], v[24:25], -v[22:23]
	v_add_f64 v[24:25], v[24:25], v[22:23]
	v_add_f64 v[125:126], v[16:17], v[50:51]
	;; [unrolled: 1-line block ×3, first 2 shown]
	v_lshlrev_b64 v[62:63], 4, v[56:57]
	v_add_f64 v[56:57], v[73:74], v[30:31]
	v_add_f64 v[111:112], v[14:15], v[34:35]
	v_add_co_u32 v89, vcc_lo, v129, v89
	v_add_f64 v[119:120], v[36:37], v[38:39]
	v_add_co_ci_u32_e32 v90, vcc_lo, v130, v90, vcc_lo
	v_add_co_u32 v60, vcc_lo, v129, v46
	v_add_co_ci_u32_e32 v61, vcc_lo, v130, v47, vcc_lo
	v_add_f64 v[46:47], v[8:9], -v[26:27]
	v_add_f64 v[44:45], v[44:45], -v[69:70]
	v_add_f64 v[8:9], v[12:13], v[26:27]
	v_fma_f64 v[26:27], v[40:41], -0.5, v[105:106]
	v_fma_f64 v[40:41], v[42:43], -0.5, v[58:59]
	v_add_f64 v[10:11], v[10:11], v[69:70]
	v_add_f64 v[42:43], v[52:53], v[67:68]
	v_add_f64 v[69:70], v[52:53], -v[32:33]
	v_add_f64 v[52:53], v[14:15], v[65:66]
	v_add_f64 v[104:105], v[0:1], v[36:37]
	v_add_f64 v[127:128], v[48:49], -v[85:86]
	v_add_f64 v[48:49], v[2:3], v[16:17]
	v_add_f64 v[36:37], v[36:37], -v[38:39]
	v_fma_f64 v[28:29], v[107:108], -0.5, v[28:29]
	v_fma_f64 v[67:68], v[109:110], -0.5, v[67:68]
	;; [unrolled: 1-line block ×3, first 2 shown]
	v_add_f64 v[106:107], v[14:15], -v[34:35]
	v_fma_f64 v[108:109], v[119:120], -0.5, v[0:1]
	v_add_f64 v[58:59], v[16:17], -v[50:51]
	v_add_f64 v[14:15], v[75:76], v[56:57]
	v_fma_f64 v[56:57], v[125:126], -0.5, v[2:3]
	v_add_f64 v[2:3], v[85:86], v[113:114]
	v_fma_f64 v[85:86], v[123:124], -0.5, v[4:5]
	v_add_f64 v[73:74], v[73:74], -v[75:76]
	v_fma_f64 v[95:96], v[95:96], -0.5, v[30:31]
	v_fma_f64 v[75:76], v[24:25], -0.5, v[6:7]
	v_add_f64 v[0:1], v[18:19], v[20:21]
	v_fma_f64 v[18:19], v[46:47], s[6:7], v[26:27]
	v_fma_f64 v[16:17], v[44:45], s[2:3], v[40:41]
	;; [unrolled: 1-line block ×4, first 2 shown]
	v_add_f64 v[26:27], v[34:35], v[52:53]
	v_add_f64 v[24:25], v[104:105], v[38:39]
	;; [unrolled: 1-line block ×5, first 2 shown]
	v_fma_f64 v[38:39], v[121:122], s[2:3], v[28:29]
	v_fma_f64 v[50:51], v[36:37], s[6:7], v[64:65]
	;; [unrolled: 1-line block ×16, first 2 shown]
	v_add_co_u32 v64, vcc_lo, v129, v97
	v_add_co_ci_u32_e32 v65, vcc_lo, v130, v98, vcc_lo
	v_add_co_u32 v62, vcc_lo, v129, v62
	v_add_co_ci_u32_e32 v63, vcc_lo, v130, v63, vcc_lo
	global_store_dwordx4 v[115:116], v[8:11], off
	global_store_dwordx4 v[117:118], v[16:19], off offset:112
	global_store_dwordx4 v[83:84], v[4:7], off offset:224
	global_store_dwordx4 v[79:80], v[24:27], off
	global_store_dwordx4 v[93:94], v[48:51], off
	;; [unrolled: 1-line block ×12, first 2 shown]
.LBB0_15:
	s_endpgm
	.section	.rodata,"a",@progbits
	.p2align	6, 0x0
	.amdhsa_kernel fft_rtc_fwd_len405_factors_5_3_3_3_3_wgs_108_tpt_27_halfLds_dp_op_CI_CI_unitstride_sbrr_dirReg
		.amdhsa_group_segment_fixed_size 0
		.amdhsa_private_segment_fixed_size 0
		.amdhsa_kernarg_size 104
		.amdhsa_user_sgpr_count 6
		.amdhsa_user_sgpr_private_segment_buffer 1
		.amdhsa_user_sgpr_dispatch_ptr 0
		.amdhsa_user_sgpr_queue_ptr 0
		.amdhsa_user_sgpr_kernarg_segment_ptr 1
		.amdhsa_user_sgpr_dispatch_id 0
		.amdhsa_user_sgpr_flat_scratch_init 0
		.amdhsa_user_sgpr_private_segment_size 0
		.amdhsa_wavefront_size32 1
		.amdhsa_uses_dynamic_stack 0
		.amdhsa_system_sgpr_private_segment_wavefront_offset 0
		.amdhsa_system_sgpr_workgroup_id_x 1
		.amdhsa_system_sgpr_workgroup_id_y 0
		.amdhsa_system_sgpr_workgroup_id_z 0
		.amdhsa_system_sgpr_workgroup_info 0
		.amdhsa_system_vgpr_workitem_id 0
		.amdhsa_next_free_vgpr 131
		.amdhsa_next_free_sgpr 27
		.amdhsa_reserve_vcc 1
		.amdhsa_reserve_flat_scratch 0
		.amdhsa_float_round_mode_32 0
		.amdhsa_float_round_mode_16_64 0
		.amdhsa_float_denorm_mode_32 3
		.amdhsa_float_denorm_mode_16_64 3
		.amdhsa_dx10_clamp 1
		.amdhsa_ieee_mode 1
		.amdhsa_fp16_overflow 0
		.amdhsa_workgroup_processor_mode 1
		.amdhsa_memory_ordered 1
		.amdhsa_forward_progress 0
		.amdhsa_shared_vgpr_count 0
		.amdhsa_exception_fp_ieee_invalid_op 0
		.amdhsa_exception_fp_denorm_src 0
		.amdhsa_exception_fp_ieee_div_zero 0
		.amdhsa_exception_fp_ieee_overflow 0
		.amdhsa_exception_fp_ieee_underflow 0
		.amdhsa_exception_fp_ieee_inexact 0
		.amdhsa_exception_int_div_zero 0
	.end_amdhsa_kernel
	.text
.Lfunc_end0:
	.size	fft_rtc_fwd_len405_factors_5_3_3_3_3_wgs_108_tpt_27_halfLds_dp_op_CI_CI_unitstride_sbrr_dirReg, .Lfunc_end0-fft_rtc_fwd_len405_factors_5_3_3_3_3_wgs_108_tpt_27_halfLds_dp_op_CI_CI_unitstride_sbrr_dirReg
                                        ; -- End function
	.section	.AMDGPU.csdata,"",@progbits
; Kernel info:
; codeLenInByte = 10768
; NumSgprs: 29
; NumVgprs: 131
; ScratchSize: 0
; MemoryBound: 1
; FloatMode: 240
; IeeeMode: 1
; LDSByteSize: 0 bytes/workgroup (compile time only)
; SGPRBlocks: 3
; VGPRBlocks: 16
; NumSGPRsForWavesPerEU: 29
; NumVGPRsForWavesPerEU: 131
; Occupancy: 7
; WaveLimiterHint : 1
; COMPUTE_PGM_RSRC2:SCRATCH_EN: 0
; COMPUTE_PGM_RSRC2:USER_SGPR: 6
; COMPUTE_PGM_RSRC2:TRAP_HANDLER: 0
; COMPUTE_PGM_RSRC2:TGID_X_EN: 1
; COMPUTE_PGM_RSRC2:TGID_Y_EN: 0
; COMPUTE_PGM_RSRC2:TGID_Z_EN: 0
; COMPUTE_PGM_RSRC2:TIDIG_COMP_CNT: 0
	.text
	.p2alignl 6, 3214868480
	.fill 48, 4, 3214868480
	.type	__hip_cuid_eb022d32a6728f5e,@object ; @__hip_cuid_eb022d32a6728f5e
	.section	.bss,"aw",@nobits
	.globl	__hip_cuid_eb022d32a6728f5e
__hip_cuid_eb022d32a6728f5e:
	.byte	0                               ; 0x0
	.size	__hip_cuid_eb022d32a6728f5e, 1

	.ident	"AMD clang version 19.0.0git (https://github.com/RadeonOpenCompute/llvm-project roc-6.4.0 25133 c7fe45cf4b819c5991fe208aaa96edf142730f1d)"
	.section	".note.GNU-stack","",@progbits
	.addrsig
	.addrsig_sym __hip_cuid_eb022d32a6728f5e
	.amdgpu_metadata
---
amdhsa.kernels:
  - .args:
      - .actual_access:  read_only
        .address_space:  global
        .offset:         0
        .size:           8
        .value_kind:     global_buffer
      - .offset:         8
        .size:           8
        .value_kind:     by_value
      - .actual_access:  read_only
        .address_space:  global
        .offset:         16
        .size:           8
        .value_kind:     global_buffer
      - .actual_access:  read_only
        .address_space:  global
        .offset:         24
        .size:           8
        .value_kind:     global_buffer
      - .actual_access:  read_only
        .address_space:  global
        .offset:         32
        .size:           8
        .value_kind:     global_buffer
      - .offset:         40
        .size:           8
        .value_kind:     by_value
      - .actual_access:  read_only
        .address_space:  global
        .offset:         48
        .size:           8
        .value_kind:     global_buffer
      - .actual_access:  read_only
        .address_space:  global
        .offset:         56
        .size:           8
        .value_kind:     global_buffer
      - .offset:         64
        .size:           4
        .value_kind:     by_value
      - .actual_access:  read_only
        .address_space:  global
        .offset:         72
        .size:           8
        .value_kind:     global_buffer
      - .actual_access:  read_only
        .address_space:  global
        .offset:         80
        .size:           8
        .value_kind:     global_buffer
      - .actual_access:  read_only
        .address_space:  global
        .offset:         88
        .size:           8
        .value_kind:     global_buffer
      - .actual_access:  write_only
        .address_space:  global
        .offset:         96
        .size:           8
        .value_kind:     global_buffer
    .group_segment_fixed_size: 0
    .kernarg_segment_align: 8
    .kernarg_segment_size: 104
    .language:       OpenCL C
    .language_version:
      - 2
      - 0
    .max_flat_workgroup_size: 108
    .name:           fft_rtc_fwd_len405_factors_5_3_3_3_3_wgs_108_tpt_27_halfLds_dp_op_CI_CI_unitstride_sbrr_dirReg
    .private_segment_fixed_size: 0
    .sgpr_count:     29
    .sgpr_spill_count: 0
    .symbol:         fft_rtc_fwd_len405_factors_5_3_3_3_3_wgs_108_tpt_27_halfLds_dp_op_CI_CI_unitstride_sbrr_dirReg.kd
    .uniform_work_group_size: 1
    .uses_dynamic_stack: false
    .vgpr_count:     131
    .vgpr_spill_count: 0
    .wavefront_size: 32
    .workgroup_processor_mode: 1
amdhsa.target:   amdgcn-amd-amdhsa--gfx1030
amdhsa.version:
  - 1
  - 2
...

	.end_amdgpu_metadata
